;; amdgpu-corpus repo=ROCm/rocFFT kind=compiled arch=gfx906 opt=O3
	.text
	.amdgcn_target "amdgcn-amd-amdhsa--gfx906"
	.amdhsa_code_object_version 6
	.protected	fft_rtc_fwd_len363_factors_11_3_11_wgs_99_tpt_33_halfLds_dp_ip_CI_unitstride_sbrr_dirReg ; -- Begin function fft_rtc_fwd_len363_factors_11_3_11_wgs_99_tpt_33_halfLds_dp_ip_CI_unitstride_sbrr_dirReg
	.globl	fft_rtc_fwd_len363_factors_11_3_11_wgs_99_tpt_33_halfLds_dp_ip_CI_unitstride_sbrr_dirReg
	.p2align	8
	.type	fft_rtc_fwd_len363_factors_11_3_11_wgs_99_tpt_33_halfLds_dp_ip_CI_unitstride_sbrr_dirReg,@function
fft_rtc_fwd_len363_factors_11_3_11_wgs_99_tpt_33_halfLds_dp_ip_CI_unitstride_sbrr_dirReg: ; @fft_rtc_fwd_len363_factors_11_3_11_wgs_99_tpt_33_halfLds_dp_ip_CI_unitstride_sbrr_dirReg
; %bb.0:
	v_mul_u32_u24_e32 v1, 0x7c2, v0
	s_load_dwordx2 s[2:3], s[4:5], 0x50
	s_load_dwordx4 s[8:11], s[4:5], 0x0
	s_load_dwordx2 s[12:13], s[4:5], 0x18
	v_lshrrev_b32_e32 v1, 16, v1
	v_mad_u64_u32 v[44:45], s[0:1], s6, 3, v[1:2]
	v_mov_b32_e32 v3, 0
	s_waitcnt lgkmcnt(0)
	v_cmp_lt_u64_e64 s[0:1], s[10:11], 2
	v_mov_b32_e32 v45, v3
	v_mov_b32_e32 v1, 0
	;; [unrolled: 1-line block ×3, first 2 shown]
	s_and_b64 vcc, exec, s[0:1]
	v_mov_b32_e32 v2, 0
	v_mov_b32_e32 v8, v45
	s_cbranch_vccnz .LBB0_8
; %bb.1:
	s_load_dwordx2 s[0:1], s[4:5], 0x10
	s_add_u32 s6, s12, 8
	s_addc_u32 s7, s13, 0
	v_mov_b32_e32 v1, 0
	v_mov_b32_e32 v5, v44
	s_waitcnt lgkmcnt(0)
	s_add_u32 s16, s0, 8
	s_mov_b64 s[14:15], 1
	v_mov_b32_e32 v2, 0
	s_addc_u32 s17, s1, 0
	v_mov_b32_e32 v6, v45
.LBB0_2:                                ; =>This Inner Loop Header: Depth=1
	s_load_dwordx2 s[18:19], s[16:17], 0x0
                                        ; implicit-def: $vgpr7_vgpr8
	s_waitcnt lgkmcnt(0)
	v_or_b32_e32 v4, s19, v6
	v_cmp_ne_u64_e32 vcc, 0, v[3:4]
	s_and_saveexec_b64 s[0:1], vcc
	s_xor_b64 s[20:21], exec, s[0:1]
	s_cbranch_execz .LBB0_4
; %bb.3:                                ;   in Loop: Header=BB0_2 Depth=1
	v_cvt_f32_u32_e32 v4, s18
	v_cvt_f32_u32_e32 v7, s19
	s_sub_u32 s0, 0, s18
	s_subb_u32 s1, 0, s19
	v_mac_f32_e32 v4, 0x4f800000, v7
	v_rcp_f32_e32 v4, v4
	v_mul_f32_e32 v4, 0x5f7ffffc, v4
	v_mul_f32_e32 v7, 0x2f800000, v4
	v_trunc_f32_e32 v7, v7
	v_mac_f32_e32 v4, 0xcf800000, v7
	v_cvt_u32_f32_e32 v7, v7
	v_cvt_u32_f32_e32 v4, v4
	v_mul_lo_u32 v8, s0, v7
	v_mul_hi_u32 v9, s0, v4
	v_mul_lo_u32 v11, s1, v4
	v_mul_lo_u32 v10, s0, v4
	v_add_u32_e32 v8, v9, v8
	v_add_u32_e32 v8, v8, v11
	v_mul_hi_u32 v9, v4, v10
	v_mul_lo_u32 v11, v4, v8
	v_mul_hi_u32 v13, v4, v8
	v_mul_hi_u32 v12, v7, v10
	v_mul_lo_u32 v10, v7, v10
	v_mul_hi_u32 v14, v7, v8
	v_add_co_u32_e32 v9, vcc, v9, v11
	v_addc_co_u32_e32 v11, vcc, 0, v13, vcc
	v_mul_lo_u32 v8, v7, v8
	v_add_co_u32_e32 v9, vcc, v9, v10
	v_addc_co_u32_e32 v9, vcc, v11, v12, vcc
	v_addc_co_u32_e32 v10, vcc, 0, v14, vcc
	v_add_co_u32_e32 v8, vcc, v9, v8
	v_addc_co_u32_e32 v9, vcc, 0, v10, vcc
	v_add_co_u32_e32 v4, vcc, v4, v8
	v_addc_co_u32_e32 v7, vcc, v7, v9, vcc
	v_mul_lo_u32 v8, s0, v7
	v_mul_hi_u32 v9, s0, v4
	v_mul_lo_u32 v10, s1, v4
	v_mul_lo_u32 v11, s0, v4
	v_add_u32_e32 v8, v9, v8
	v_add_u32_e32 v8, v8, v10
	v_mul_lo_u32 v12, v4, v8
	v_mul_hi_u32 v13, v4, v11
	v_mul_hi_u32 v14, v4, v8
	;; [unrolled: 1-line block ×3, first 2 shown]
	v_mul_lo_u32 v11, v7, v11
	v_mul_hi_u32 v9, v7, v8
	v_add_co_u32_e32 v12, vcc, v13, v12
	v_addc_co_u32_e32 v13, vcc, 0, v14, vcc
	v_mul_lo_u32 v8, v7, v8
	v_add_co_u32_e32 v11, vcc, v12, v11
	v_addc_co_u32_e32 v10, vcc, v13, v10, vcc
	v_addc_co_u32_e32 v9, vcc, 0, v9, vcc
	v_add_co_u32_e32 v8, vcc, v10, v8
	v_addc_co_u32_e32 v9, vcc, 0, v9, vcc
	v_add_co_u32_e32 v4, vcc, v4, v8
	v_addc_co_u32_e32 v9, vcc, v7, v9, vcc
	v_mad_u64_u32 v[7:8], s[0:1], v5, v9, 0
	v_mul_hi_u32 v10, v5, v4
	v_add_co_u32_e32 v11, vcc, v10, v7
	v_addc_co_u32_e32 v12, vcc, 0, v8, vcc
	v_mad_u64_u32 v[7:8], s[0:1], v6, v4, 0
	v_mad_u64_u32 v[9:10], s[0:1], v6, v9, 0
	v_add_co_u32_e32 v4, vcc, v11, v7
	v_addc_co_u32_e32 v4, vcc, v12, v8, vcc
	v_addc_co_u32_e32 v7, vcc, 0, v10, vcc
	v_add_co_u32_e32 v4, vcc, v4, v9
	v_addc_co_u32_e32 v9, vcc, 0, v7, vcc
	v_mul_lo_u32 v10, s19, v4
	v_mul_lo_u32 v11, s18, v9
	v_mad_u64_u32 v[7:8], s[0:1], s18, v4, 0
	v_add3_u32 v8, v8, v11, v10
	v_sub_u32_e32 v10, v6, v8
	v_mov_b32_e32 v11, s19
	v_sub_co_u32_e32 v7, vcc, v5, v7
	v_subb_co_u32_e64 v10, s[0:1], v10, v11, vcc
	v_subrev_co_u32_e64 v11, s[0:1], s18, v7
	v_subbrev_co_u32_e64 v10, s[0:1], 0, v10, s[0:1]
	v_cmp_le_u32_e64 s[0:1], s19, v10
	v_cndmask_b32_e64 v12, 0, -1, s[0:1]
	v_cmp_le_u32_e64 s[0:1], s18, v11
	v_cndmask_b32_e64 v11, 0, -1, s[0:1]
	v_cmp_eq_u32_e64 s[0:1], s19, v10
	v_cndmask_b32_e64 v10, v12, v11, s[0:1]
	v_add_co_u32_e64 v11, s[0:1], 2, v4
	v_addc_co_u32_e64 v12, s[0:1], 0, v9, s[0:1]
	v_add_co_u32_e64 v13, s[0:1], 1, v4
	v_addc_co_u32_e64 v14, s[0:1], 0, v9, s[0:1]
	v_subb_co_u32_e32 v8, vcc, v6, v8, vcc
	v_cmp_ne_u32_e64 s[0:1], 0, v10
	v_cmp_le_u32_e32 vcc, s19, v8
	v_cndmask_b32_e64 v10, v14, v12, s[0:1]
	v_cndmask_b32_e64 v12, 0, -1, vcc
	v_cmp_le_u32_e32 vcc, s18, v7
	v_cndmask_b32_e64 v7, 0, -1, vcc
	v_cmp_eq_u32_e32 vcc, s19, v8
	v_cndmask_b32_e32 v7, v12, v7, vcc
	v_cmp_ne_u32_e32 vcc, 0, v7
	v_cndmask_b32_e64 v7, v13, v11, s[0:1]
	v_cndmask_b32_e32 v8, v9, v10, vcc
	v_cndmask_b32_e32 v7, v4, v7, vcc
.LBB0_4:                                ;   in Loop: Header=BB0_2 Depth=1
	s_andn2_saveexec_b64 s[0:1], s[20:21]
	s_cbranch_execz .LBB0_6
; %bb.5:                                ;   in Loop: Header=BB0_2 Depth=1
	v_cvt_f32_u32_e32 v4, s18
	s_sub_i32 s20, 0, s18
	v_rcp_iflag_f32_e32 v4, v4
	v_mul_f32_e32 v4, 0x4f7ffffe, v4
	v_cvt_u32_f32_e32 v4, v4
	v_mul_lo_u32 v7, s20, v4
	v_mul_hi_u32 v7, v4, v7
	v_add_u32_e32 v4, v4, v7
	v_mul_hi_u32 v4, v5, v4
	v_mul_lo_u32 v7, v4, s18
	v_add_u32_e32 v8, 1, v4
	v_sub_u32_e32 v7, v5, v7
	v_subrev_u32_e32 v9, s18, v7
	v_cmp_le_u32_e32 vcc, s18, v7
	v_cndmask_b32_e32 v7, v7, v9, vcc
	v_cndmask_b32_e32 v4, v4, v8, vcc
	v_add_u32_e32 v8, 1, v4
	v_cmp_le_u32_e32 vcc, s18, v7
	v_cndmask_b32_e32 v7, v4, v8, vcc
	v_mov_b32_e32 v8, v3
.LBB0_6:                                ;   in Loop: Header=BB0_2 Depth=1
	s_or_b64 exec, exec, s[0:1]
	v_mul_lo_u32 v4, v8, s18
	v_mul_lo_u32 v11, v7, s19
	v_mad_u64_u32 v[9:10], s[0:1], v7, s18, 0
	s_load_dwordx2 s[0:1], s[6:7], 0x0
	s_add_u32 s14, s14, 1
	v_add3_u32 v4, v10, v11, v4
	v_sub_co_u32_e32 v5, vcc, v5, v9
	v_subb_co_u32_e32 v4, vcc, v6, v4, vcc
	s_waitcnt lgkmcnt(0)
	v_mul_lo_u32 v4, s0, v4
	v_mul_lo_u32 v6, s1, v5
	v_mad_u64_u32 v[1:2], s[0:1], s0, v5, v[1:2]
	s_addc_u32 s15, s15, 0
	s_add_u32 s6, s6, 8
	v_add3_u32 v2, v6, v2, v4
	v_mov_b32_e32 v4, s10
	v_mov_b32_e32 v5, s11
	s_addc_u32 s7, s7, 0
	v_cmp_ge_u64_e32 vcc, s[14:15], v[4:5]
	s_add_u32 s16, s16, 8
	s_addc_u32 s17, s17, 0
	s_cbranch_vccnz .LBB0_8
; %bb.7:                                ;   in Loop: Header=BB0_2 Depth=1
	v_mov_b32_e32 v5, v7
	v_mov_b32_e32 v6, v8
	s_branch .LBB0_2
.LBB0_8:
	s_lshl_b64 s[0:1], s[10:11], 3
	s_add_u32 s0, s12, s0
	s_addc_u32 s1, s13, s1
	s_load_dwordx2 s[6:7], s[0:1], 0x0
	s_load_dwordx2 s[10:11], s[4:5], 0x20
	v_mov_b32_e32 v66, 0
	v_mov_b32_e32 v67, 0
                                        ; implicit-def: $vgpr30_vgpr31
                                        ; implicit-def: $vgpr26_vgpr27
                                        ; implicit-def: $vgpr22_vgpr23
                                        ; implicit-def: $vgpr14_vgpr15
                                        ; implicit-def: $vgpr18_vgpr19
                                        ; implicit-def: $vgpr34_vgpr35
                                        ; implicit-def: $vgpr38_vgpr39
                                        ; implicit-def: $vgpr42_vgpr43
                                        ; implicit-def: $vgpr10_vgpr11
	s_waitcnt lgkmcnt(0)
	v_mad_u64_u32 v[1:2], s[0:1], s6, v7, v[1:2]
	v_mul_lo_u32 v3, s6, v8
	v_mul_lo_u32 v4, s7, v7
	s_mov_b32 s0, 0x7c1f07d
	v_mul_hi_u32 v5, v0, s0
	v_cmp_gt_u64_e32 vcc, s[10:11], v[7:8]
	v_add3_u32 v2, v4, v2, v3
	v_lshlrev_b64 v[64:65], 4, v[1:2]
	v_mul_u32_u24_e32 v3, 33, v5
	v_sub_u32_e32 v68, v0, v3
                                        ; implicit-def: $vgpr2_vgpr3
                                        ; implicit-def: $vgpr6_vgpr7
	s_and_saveexec_b64 s[4:5], vcc
	s_cbranch_execz .LBB0_10
; %bb.9:
	v_mov_b32_e32 v69, 0
	v_mov_b32_e32 v0, s3
	v_add_co_u32_e64 v2, s[0:1], s2, v64
	v_addc_co_u32_e64 v3, s[0:1], v0, v65, s[0:1]
	v_lshlrev_b64 v[0:1], 4, v[68:69]
	v_mov_b32_e32 v66, v68
	v_add_co_u32_e64 v45, s[0:1], v2, v0
	v_addc_co_u32_e64 v46, s[0:1], v3, v1, s[0:1]
	s_movk_i32 s0, 0x1000
	v_add_co_u32_e64 v47, s[0:1], s0, v45
	global_load_dwordx4 v[8:11], v[45:46], off
	global_load_dwordx4 v[40:43], v[45:46], off offset:528
	global_load_dwordx4 v[36:39], v[45:46], off offset:1056
	;; [unrolled: 1-line block ×3, first 2 shown]
	v_addc_co_u32_e64 v48, s[0:1], 0, v46, s[0:1]
	global_load_dwordx4 v[16:19], v[45:46], off offset:2112
	global_load_dwordx4 v[4:7], v[45:46], off offset:2640
	;; [unrolled: 1-line block ×7, first 2 shown]
	v_mov_b32_e32 v67, v69
.LBB0_10:
	s_or_b64 exec, exec, s[4:5]
	s_waitcnt vmcnt(9)
	v_add_f64 v[45:46], v[40:41], v[8:9]
	s_mov_b32 s18, 0xaaaaaaab
	v_mul_hi_u32 v55, v44, s18
	s_waitcnt vmcnt(0)
	v_add_f64 v[47:48], v[28:29], v[40:41]
	s_mov_b32 s4, 0x8764f0ba
	s_mov_b32 s6, 0xd9c712b6
	v_lshrrev_b32_e32 v55, 1, v55
	v_lshl_add_u32 v55, v55, 1, v55
	v_add_f64 v[45:46], v[36:37], v[45:46]
	v_sub_u32_e32 v44, v44, v55
	v_mul_u32_u24_e32 v73, 0x16b, v44
	s_mov_b32 s10, 0x640f44db
	s_mov_b32 s5, 0x3feaeb8c
	;; [unrolled: 1-line block ×4, first 2 shown]
	v_add_f64 v[49:50], v[42:43], -v[30:31]
	v_add_f64 v[45:46], v[32:33], v[45:46]
	v_add_f64 v[51:52], v[24:25], v[36:37]
	v_mul_f64 v[55:56], v[47:48], s[4:5]
	v_mul_f64 v[57:58], v[47:48], s[6:7]
	;; [unrolled: 1-line block ×3, first 2 shown]
	s_mov_b32 s14, 0xf8bb580b
	s_mov_b32 s16, 0x8eee2c13
	;; [unrolled: 1-line block ×3, first 2 shown]
	v_add_f64 v[45:46], v[16:17], v[45:46]
	s_mov_b32 s12, 0x7f775887
	s_mov_b32 s24, 0x9bcd5057
	;; [unrolled: 1-line block ×7, first 2 shown]
	v_add_f64 v[45:46], v[4:5], v[45:46]
	s_mov_b32 s25, 0xbfeeb42a
	s_mov_b32 s22, s14
	v_add_f64 v[53:54], v[38:39], -v[26:27]
	v_mul_f64 v[61:62], v[47:48], s[12:13]
	v_mul_f64 v[69:70], v[51:52], s[6:7]
	v_fma_f64 v[74:75], v[49:50], s[14:15], v[55:56]
	v_fma_f64 v[55:56], v[49:50], s[22:23], v[55:56]
	v_add_f64 v[45:46], v[0:1], v[45:46]
	v_fma_f64 v[76:77], v[49:50], s[16:17], v[57:58]
	v_fma_f64 v[78:79], v[49:50], s[28:29], v[59:60]
	s_mov_b32 s0, 0xbb3a28a1
	s_mov_b32 s34, 0xfd768dbf
	;; [unrolled: 1-line block ×5, first 2 shown]
	v_add_f64 v[44:45], v[12:13], v[45:46]
	v_mul_f64 v[46:47], v[47:48], s[24:25]
	s_mov_b32 s21, 0xbfe82f19
	s_mov_b32 s35, 0x3fd207e7
	;; [unrolled: 1-line block ×6, first 2 shown]
	v_add_f64 v[44:45], v[20:21], v[44:45]
	s_mov_b32 s26, s34
	v_mul_f64 v[71:72], v[51:52], s[12:13]
	v_fma_f64 v[57:58], v[49:50], s[30:31], v[57:58]
	v_fma_f64 v[59:60], v[49:50], s[18:19], v[59:60]
	;; [unrolled: 1-line block ×5, first 2 shown]
	v_add_f64 v[44:45], v[24:25], v[44:45]
	v_fma_f64 v[46:47], v[49:50], s[26:27], v[46:47]
	v_add_f64 v[48:49], v[8:9], v[74:75]
	v_add_f64 v[55:56], v[8:9], v[55:56]
	;; [unrolled: 1-line block ×4, first 2 shown]
	v_mul_f64 v[84:85], v[51:52], s[24:25]
	v_fma_f64 v[86:87], v[53:54], s[0:1], v[71:72]
	v_add_f64 v[78:79], v[28:29], v[44:45]
	v_fma_f64 v[44:45], v[53:54], s[16:17], v[69:70]
	v_fma_f64 v[69:70], v[53:54], s[30:31], v[69:70]
	v_add_f64 v[57:58], v[8:9], v[57:58]
	v_add_f64 v[59:60], v[8:9], v[59:60]
	v_add_f64 v[80:81], v[8:9], v[80:81]
	v_add_f64 v[61:62], v[8:9], v[61:62]
	v_add_f64 v[82:83], v[8:9], v[82:83]
	v_add_f64 v[8:9], v[8:9], v[46:47]
	v_add_f64 v[44:45], v[44:45], v[48:49]
	v_add_f64 v[55:56], v[69:70], v[55:56]
	v_add_f64 v[69:70], v[20:21], v[32:33]
	v_fma_f64 v[46:47], v[53:54], s[20:21], v[71:72]
	v_mul_f64 v[48:49], v[51:52], s[10:11]
	v_fma_f64 v[71:72], v[53:54], s[26:27], v[84:85]
	v_add_f64 v[74:75], v[86:87], v[74:75]
	v_mul_f64 v[50:51], v[51:52], s[4:5]
	v_fma_f64 v[84:85], v[53:54], s[34:35], v[84:85]
	v_add_f64 v[86:87], v[34:35], -v[22:23]
	v_mul_f64 v[88:89], v[69:70], s[10:11]
	v_add_f64 v[46:47], v[46:47], v[57:58]
	v_fma_f64 v[57:58], v[53:54], s[18:19], v[48:49]
	v_add_f64 v[71:72], v[71:72], v[76:77]
	v_fma_f64 v[48:49], v[53:54], s[28:29], v[48:49]
	v_fma_f64 v[76:77], v[53:54], s[22:23], v[50:51]
	v_add_f64 v[59:60], v[84:85], v[59:60]
	v_mul_f64 v[84:85], v[69:70], s[24:25]
	v_fma_f64 v[50:51], v[53:54], s[14:15], v[50:51]
	v_fma_f64 v[52:53], v[86:87], s[28:29], v[88:89]
	v_add_f64 v[57:58], v[57:58], v[80:81]
	v_fma_f64 v[80:81], v[86:87], s[18:19], v[88:89]
	v_add_f64 v[48:49], v[48:49], v[61:62]
	v_add_f64 v[61:62], v[76:77], v[82:83]
	v_mul_f64 v[76:77], v[69:70], s[6:7]
	v_fma_f64 v[82:83], v[86:87], s[26:27], v[84:85]
	v_fma_f64 v[84:85], v[86:87], s[34:35], v[84:85]
	v_add_f64 v[44:45], v[52:53], v[44:45]
	v_add_f64 v[52:53], v[12:13], v[16:17]
	;; [unrolled: 1-line block ×4, first 2 shown]
	v_mul_f64 v[54:55], v[69:70], s[4:5]
	v_fma_f64 v[80:81], v[86:87], s[30:31], v[76:77]
	v_add_f64 v[74:75], v[82:83], v[74:75]
	v_add_f64 v[46:47], v[84:85], v[46:47]
	v_mul_f64 v[69:70], v[69:70], s[12:13]
	v_fma_f64 v[76:77], v[86:87], s[16:17], v[76:77]
	v_add_f64 v[82:83], v[18:19], -v[14:15]
	v_mul_f64 v[84:85], v[52:53], s[12:13]
	v_fma_f64 v[88:89], v[86:87], s[14:15], v[54:55]
	v_add_f64 v[71:72], v[80:81], v[71:72]
	v_mul_f64 v[80:81], v[52:53], s[10:11]
	v_fma_f64 v[54:55], v[86:87], s[22:23], v[54:55]
	v_fma_f64 v[90:91], v[86:87], s[0:1], v[69:70]
	v_add_f64 v[59:60], v[76:77], v[59:60]
	v_fma_f64 v[69:70], v[86:87], s[20:21], v[69:70]
	v_fma_f64 v[76:77], v[82:83], s[0:1], v[84:85]
	;; [unrolled: 1-line block ×3, first 2 shown]
	v_add_f64 v[56:57], v[88:89], v[57:58]
	v_fma_f64 v[86:87], v[82:83], s[18:19], v[80:81]
	v_add_f64 v[48:49], v[54:55], v[48:49]
	v_add_f64 v[54:55], v[90:91], v[61:62]
	v_mul_f64 v[61:62], v[52:53], s[4:5]
	v_add_f64 v[8:9], v[69:70], v[8:9]
	v_add_f64 v[44:45], v[76:77], v[44:45]
	v_mul_f64 v[69:70], v[52:53], s[24:25]
	v_add_f64 v[76:77], v[0:1], v[4:5]
	v_fma_f64 v[80:81], v[82:83], s[28:29], v[80:81]
	v_mul_f64 v[52:53], v[52:53], s[6:7]
	v_add_f64 v[50:51], v[84:85], v[50:51]
	v_add_f64 v[74:75], v[86:87], v[74:75]
	v_fma_f64 v[84:85], v[82:83], s[14:15], v[61:62]
	v_fma_f64 v[61:62], v[82:83], s[22:23], v[61:62]
	;; [unrolled: 1-line block ×4, first 2 shown]
	v_add_f64 v[88:89], v[6:7], -v[2:3]
	v_mul_f64 v[90:91], v[76:77], s[24:25]
	v_add_f64 v[80:81], v[80:81], v[46:47]
	v_fma_f64 v[46:47], v[82:83], s[30:31], v[52:53]
	v_fma_f64 v[52:53], v[82:83], s[16:17], v[52:53]
	v_add_f64 v[58:59], v[61:62], v[59:60]
	v_mul_f64 v[82:83], v[76:77], s[12:13]
	v_add_f64 v[48:49], v[69:70], v[48:49]
	v_mul_f64 v[69:70], v[76:77], s[4:5]
	v_fma_f64 v[60:61], v[88:89], s[34:35], v[90:91]
	v_fma_f64 v[62:63], v[88:89], s[26:27], v[90:91]
	v_add_f64 v[71:72], v[84:85], v[71:72]
	v_mul_f64 v[84:85], v[76:77], s[6:7]
	v_add_f64 v[8:9], v[52:53], v[8:9]
	v_mul_f64 v[52:53], v[76:77], s[10:11]
	v_add_f64 v[54:55], v[46:47], v[54:55]
	v_add_f64 v[56:57], v[86:87], v[56:57]
	v_add_f64 v[60:61], v[60:61], v[44:45]
	v_add_f64 v[46:47], v[62:63], v[50:51]
	v_fma_f64 v[44:45], v[88:89], s[22:23], v[69:70]
	v_fma_f64 v[50:51], v[88:89], s[14:15], v[69:70]
	;; [unrolled: 1-line block ×8, first 2 shown]
	v_add_f64 v[74:75], v[44:45], v[74:75]
	v_add_f64 v[44:45], v[50:51], v[80:81]
	;; [unrolled: 1-line block ×8, first 2 shown]
	v_lshl_add_u32 v9, v73, 3, 0
	s_movk_i32 s0, 0x58
	v_mad_u32_u24 v8, v68, s0, v9
	s_movk_i32 s0, 0xffb0
	ds_write2_b64 v8, v[78:79], v[60:61] offset1:1
	ds_write2_b64 v8, v[74:75], v[50:51] offset0:2 offset1:3
	ds_write2_b64 v8, v[56:57], v[54:55] offset0:4 offset1:5
	;; [unrolled: 1-line block ×4, first 2 shown]
	ds_write_b64 v8, v[46:47] offset:80
	v_lshl_add_u32 v74, v68, 3, v9
	v_mad_i32_i24 v75, v68, s0, v8
	s_waitcnt lgkmcnt(0)
	s_barrier
	ds_read_b64 v[69:70], v74
	ds_read2_b64 v[56:59], v75 offset0:121 offset1:154
	ds_read2_b64 v[52:55], v75 offset0:187 offset1:242
	;; [unrolled: 1-line block ×3, first 2 shown]
	v_add_u32_e32 v76, 0x800, v75
	ds_read2_b64 v[60:63], v76 offset0:19 offset1:52
	v_cmp_gt_u32_e64 s[0:1], 22, v68
                                        ; implicit-def: $vgpr71_vgpr72
	s_and_saveexec_b64 s[36:37], s[0:1]
	s_cbranch_execz .LBB0_12
; %bb.11:
	ds_read2_b64 v[44:47], v75 offset0:99 offset1:220
	ds_read_b64 v[71:72], v75 offset:2728
.LBB0_12:
	s_or_b64 exec, exec, s[36:37]
	v_add_f64 v[77:78], v[42:43], v[10:11]
	v_add_f64 v[20:21], v[32:33], -v[20:21]
	v_add_f64 v[28:29], v[40:41], -v[28:29]
	v_add_f64 v[40:41], v[30:31], v[42:43]
	v_add_f64 v[42:43], v[26:27], v[38:39]
	v_add_f64 v[24:25], v[36:37], -v[24:25]
	v_add_f64 v[36:37], v[22:23], v[34:35]
	v_add_f64 v[0:1], v[4:5], -v[0:1]
	v_add_f64 v[32:33], v[38:39], v[77:78]
	v_mul_f64 v[89:90], v[20:21], s[18:19]
	v_mul_f64 v[38:39], v[28:29], s[22:23]
	;; [unrolled: 1-line block ×7, first 2 shown]
	v_add_f64 v[32:33], v[34:35], v[32:33]
	v_mul_f64 v[85:86], v[24:25], s[20:21]
	v_fma_f64 v[95:96], v[40:41], s[4:5], v[38:39]
	v_fma_f64 v[38:39], v[40:41], s[4:5], -v[38:39]
	v_fma_f64 v[97:98], v[40:41], s[6:7], v[77:78]
	v_mul_f64 v[87:88], v[24:25], s[34:35]
	v_mul_f64 v[34:35], v[24:25], s[28:29]
	;; [unrolled: 1-line block ×3, first 2 shown]
	v_add_f64 v[32:33], v[18:19], v[32:33]
	v_mul_f64 v[91:92], v[20:21], s[34:35]
	v_fma_f64 v[77:78], v[40:41], s[6:7], -v[77:78]
	v_fma_f64 v[99:100], v[40:41], s[10:11], v[79:80]
	v_fma_f64 v[79:80], v[40:41], s[10:11], -v[79:80]
	v_fma_f64 v[101:102], v[40:41], s[12:13], v[81:82]
	;; [unrolled: 2-line block ×3, first 2 shown]
	v_add_f64 v[32:33], v[6:7], v[32:33]
	v_fma_f64 v[28:29], v[40:41], s[24:25], -v[28:29]
	v_fma_f64 v[40:41], v[42:43], s[6:7], v[83:84]
	v_fma_f64 v[83:84], v[42:43], s[6:7], -v[83:84]
	v_fma_f64 v[105:106], v[42:43], s[12:13], v[85:86]
	v_add_f64 v[95:96], v[10:11], v[95:96]
	v_add_f64 v[38:39], v[10:11], v[38:39]
	;; [unrolled: 1-line block ×4, first 2 shown]
	v_mul_f64 v[93:94], v[20:21], s[16:17]
	v_fma_f64 v[85:86], v[42:43], s[12:13], -v[85:86]
	v_fma_f64 v[107:108], v[42:43], s[24:25], v[87:88]
	v_fma_f64 v[87:88], v[42:43], s[24:25], -v[87:88]
	v_fma_f64 v[109:110], v[42:43], s[10:11], v[34:35]
	;; [unrolled: 2-line block ×3, first 2 shown]
	v_add_f64 v[32:33], v[14:15], v[32:33]
	v_fma_f64 v[24:25], v[42:43], s[4:5], -v[24:25]
	v_fma_f64 v[42:43], v[36:37], s[10:11], v[89:90]
	v_fma_f64 v[89:90], v[36:37], s[10:11], -v[89:90]
	v_fma_f64 v[113:114], v[36:37], s[24:25], v[91:92]
	v_add_f64 v[77:78], v[10:11], v[77:78]
	v_add_f64 v[99:100], v[10:11], v[99:100]
	;; [unrolled: 1-line block ×12, first 2 shown]
	v_add_f64 v[11:12], v[16:17], -v[12:13]
	v_add_f64 v[26:27], v[85:86], v[77:78]
	v_add_f64 v[77:78], v[107:108], v[99:100]
	;; [unrolled: 1-line block ×4, first 2 shown]
	v_mul_f64 v[16:17], v[20:21], s[22:23]
	v_mul_f64 v[20:21], v[20:21], s[20:21]
	v_add_f64 v[24:25], v[30:31], v[22:23]
	v_add_f64 v[22:23], v[42:43], v[28:29]
	;; [unrolled: 1-line block ×3, first 2 shown]
	v_fma_f64 v[30:31], v[36:37], s[6:7], v[93:94]
	v_add_f64 v[38:39], v[113:114], v[40:41]
	v_fma_f64 v[40:41], v[36:37], s[6:7], -v[93:94]
	v_add_f64 v[13:14], v[14:15], v[18:19]
	v_mul_f64 v[18:19], v[11:12], s[20:21]
	v_fma_f64 v[91:92], v[36:37], s[24:25], -v[91:92]
	v_add_f64 v[32:33], v[109:110], v[32:33]
	v_fma_f64 v[42:43], v[36:37], s[4:5], v[16:17]
	v_add_f64 v[30:31], v[30:31], v[77:78]
	v_mul_f64 v[77:78], v[11:12], s[28:29]
	v_fma_f64 v[15:16], v[36:37], s[4:5], -v[16:17]
	v_fma_f64 v[83:84], v[36:37], s[12:13], v[20:21]
	v_add_f64 v[40:41], v[40:41], v[79:80]
	v_fma_f64 v[20:21], v[36:37], s[12:13], -v[20:21]
	v_fma_f64 v[36:37], v[13:14], s[12:13], v[18:19]
	v_mul_f64 v[79:80], v[11:12], s[22:23]
	v_add_f64 v[34:35], v[34:35], v[81:82]
	v_add_f64 v[81:82], v[111:112], v[101:102]
	;; [unrolled: 1-line block ×4, first 2 shown]
	v_fma_f64 v[17:18], v[13:14], s[12:13], -v[18:19]
	v_fma_f64 v[42:43], v[13:14], s[10:11], v[77:78]
	v_add_f64 v[9:10], v[20:21], v[9:10]
	v_add_f64 v[19:20], v[36:37], v[22:23]
	v_mul_f64 v[21:22], v[11:12], s[26:27]
	v_fma_f64 v[4:5], v[13:14], s[10:11], -v[77:78]
	v_fma_f64 v[36:37], v[13:14], s[4:5], v[79:80]
	v_mul_f64 v[11:12], v[11:12], s[16:17]
	v_add_f64 v[15:16], v[15:16], v[34:35]
	v_add_f64 v[34:35], v[83:84], v[81:82]
	;; [unrolled: 1-line block ×4, first 2 shown]
	v_fma_f64 v[42:43], v[13:14], s[24:25], v[21:22]
	v_fma_f64 v[21:22], v[13:14], s[24:25], -v[21:22]
	v_add_f64 v[2:3], v[2:3], v[6:7]
	v_mul_f64 v[6:7], v[0:1], s[26:27]
	v_add_f64 v[4:5], v[4:5], v[26:27]
	v_add_f64 v[26:27], v[36:37], v[30:31]
	v_fma_f64 v[30:31], v[13:14], s[6:7], v[11:12]
	v_fma_f64 v[38:39], v[13:14], s[4:5], -v[79:80]
	v_fma_f64 v[11:12], v[13:14], s[6:7], -v[11:12]
	v_add_f64 v[13:14], v[21:22], v[15:16]
	v_mul_f64 v[21:22], v[0:1], s[14:15]
	v_fma_f64 v[15:16], v[2:3], s[24:25], v[6:7]
	v_fma_f64 v[6:7], v[2:3], s[24:25], -v[6:7]
	v_add_f64 v[32:33], v[42:43], v[32:33]
	v_add_f64 v[30:31], v[30:31], v[34:35]
	v_mul_f64 v[34:35], v[0:1], s[20:21]
	v_add_f64 v[36:37], v[38:39], v[40:41]
	v_mul_f64 v[38:39], v[0:1], s[16:17]
	v_mul_f64 v[0:1], v[0:1], s[18:19]
	v_add_f64 v[9:10], v[11:12], v[9:10]
	v_add_f64 v[11:12], v[15:16], v[19:20]
	;; [unrolled: 1-line block ×3, first 2 shown]
	v_fma_f64 v[15:16], v[2:3], s[4:5], v[21:22]
	v_fma_f64 v[17:18], v[2:3], s[4:5], -v[21:22]
	v_fma_f64 v[19:20], v[2:3], s[12:13], v[34:35]
	v_fma_f64 v[40:41], v[2:3], s[6:7], v[38:39]
	;; [unrolled: 1-line block ×3, first 2 shown]
	v_fma_f64 v[38:39], v[2:3], s[6:7], -v[38:39]
	v_fma_f64 v[0:1], v[2:3], s[10:11], -v[0:1]
	v_fma_f64 v[2:3], v[2:3], s[12:13], -v[34:35]
	v_add_f64 v[15:16], v[15:16], v[28:29]
	v_add_f64 v[22:23], v[17:18], v[4:5]
	;; [unrolled: 1-line block ×8, first 2 shown]
	s_waitcnt lgkmcnt(0)
	s_barrier
	ds_write2_b64 v8, v[24:25], v[11:12] offset1:1
	ds_write2_b64 v8, v[15:16], v[4:5] offset0:2 offset1:3
	ds_write2_b64 v8, v[17:18], v[19:20] offset0:4 offset1:5
	ds_write2_b64 v8, v[0:1], v[13:14] offset0:6 offset1:7
	ds_write2_b64 v8, v[2:3], v[22:23] offset0:8 offset1:9
	ds_write_b64 v8, v[6:7] offset:80
	s_waitcnt lgkmcnt(0)
	s_barrier
	ds_read_b64 v[20:21], v74
	ds_read2_b64 v[16:19], v75 offset0:121 offset1:154
	ds_read2_b64 v[8:11], v75 offset0:187 offset1:242
	;; [unrolled: 1-line block ×4, first 2 shown]
                                        ; implicit-def: $vgpr24_vgpr25
	s_and_saveexec_b64 s[4:5], s[0:1]
	s_cbranch_execz .LBB0_14
; %bb.13:
	ds_read2_b64 v[4:7], v75 offset0:99 offset1:220
	ds_read_b64 v[24:25], v75 offset:2728
	s_waitcnt lgkmcnt(1)
	v_mov_b32_e32 v23, v5
	v_mov_b32_e32 v22, v4
.LBB0_14:
	s_or_b64 exec, exec, s[4:5]
	s_movk_i32 s4, 0x75
	v_mul_lo_u16_sdwa v4, v68, s4 dst_sel:DWORD dst_unused:UNUSED_PAD src0_sel:BYTE_0 src1_sel:DWORD
	v_sub_u16_sdwa v5, v68, v4 dst_sel:DWORD dst_unused:UNUSED_PAD src0_sel:DWORD src1_sel:BYTE_1
	v_lshrrev_b16_e32 v5, 1, v5
	v_and_b32_e32 v5, 0x7f, v5
	v_add_u16_sdwa v4, v5, v4 dst_sel:DWORD dst_unused:UNUSED_PAD src0_sel:DWORD src1_sel:BYTE_1
	v_lshrrev_b16_e32 v4, 3, v4
	v_mul_lo_u16_e32 v5, 11, v4
	v_sub_u16_e32 v5, v68, v5
	v_mov_b32_e32 v34, 5
	v_lshlrev_b32_sdwa v35, v34, v5 dst_sel:DWORD dst_unused:UNUSED_PAD src0_sel:DWORD src1_sel:BYTE_0
	global_load_dwordx4 v[26:29], v35, s[8:9] offset:16
	global_load_dwordx4 v[30:33], v35, s[8:9]
	v_add_u16_e32 v35, 33, v68
	v_mul_lo_u16_sdwa v36, v35, s4 dst_sel:DWORD dst_unused:UNUSED_PAD src0_sel:BYTE_0 src1_sel:DWORD
	v_sub_u16_sdwa v37, v35, v36 dst_sel:DWORD dst_unused:UNUSED_PAD src0_sel:DWORD src1_sel:BYTE_1
	v_lshrrev_b16_e32 v37, 1, v37
	v_and_b32_e32 v37, 0x7f, v37
	v_add_u16_sdwa v36, v37, v36 dst_sel:DWORD dst_unused:UNUSED_PAD src0_sel:DWORD src1_sel:BYTE_1
	v_lshrrev_b16_e32 v78, 3, v36
	v_mul_lo_u16_e32 v36, 11, v78
	v_sub_u16_e32 v35, v35, v36
	v_lshlrev_b32_sdwa v76, v34, v35 dst_sel:DWORD dst_unused:UNUSED_PAD src0_sel:DWORD src1_sel:BYTE_0
	global_load_dwordx4 v[36:39], v76, s[8:9] offset:16
	global_load_dwordx4 v[40:43], v76, s[8:9]
	v_add_u16_e32 v76, 0x42, v68
	v_mul_lo_u16_sdwa v77, v76, s4 dst_sel:DWORD dst_unused:UNUSED_PAD src0_sel:BYTE_0 src1_sel:DWORD
	v_sub_u16_sdwa v79, v76, v77 dst_sel:DWORD dst_unused:UNUSED_PAD src0_sel:DWORD src1_sel:BYTE_1
	v_lshrrev_b16_e32 v79, 1, v79
	v_and_b32_e32 v79, 0x7f, v79
	v_add_u16_sdwa v77, v79, v77 dst_sel:DWORD dst_unused:UNUSED_PAD src0_sel:DWORD src1_sel:BYTE_1
	v_lshrrev_b16_e32 v79, 3, v77
	v_mul_lo_u16_e32 v77, 11, v79
	v_sub_u16_e32 v97, v76, v77
	v_lshlrev_b32_sdwa v76, v34, v97 dst_sel:DWORD dst_unused:UNUSED_PAD src0_sel:DWORD src1_sel:BYTE_0
	v_add_u16_e32 v77, 0x63, v68
	global_load_dwordx4 v[81:84], v76, s[8:9] offset:16
	global_load_dwordx4 v[85:88], v76, s[8:9]
	v_mul_lo_u16_sdwa v76, v77, s4 dst_sel:DWORD dst_unused:UNUSED_PAD src0_sel:BYTE_0 src1_sel:DWORD
	v_sub_u16_sdwa v80, v77, v76 dst_sel:DWORD dst_unused:UNUSED_PAD src0_sel:DWORD src1_sel:BYTE_1
	v_lshrrev_b16_e32 v80, 1, v80
	v_and_b32_e32 v80, 0x7f, v80
	v_add_u16_sdwa v76, v80, v76 dst_sel:DWORD dst_unused:UNUSED_PAD src0_sel:DWORD src1_sel:BYTE_1
	v_lshrrev_b16_e32 v76, 3, v76
	v_mul_lo_u16_e32 v80, 11, v76
	v_sub_u16_e32 v77, v77, v80
	v_lshlrev_b32_sdwa v34, v34, v77 dst_sel:DWORD dst_unused:UNUSED_PAD src0_sel:DWORD src1_sel:BYTE_0
	global_load_dwordx4 v[89:92], v34, s[8:9]
	global_load_dwordx4 v[93:96], v34, s[8:9] offset:16
	s_movk_i32 s12, 0x108
	v_mov_b32_e32 v80, 3
	v_lshlrev_b32_e32 v73, 3, v73
	v_mad_u32_u24 v4, v4, s12, 0
	v_mad_u32_u24 v34, v78, s12, 0
	v_lshlrev_b32_sdwa v5, v80, v5 dst_sel:DWORD dst_unused:UNUSED_PAD src0_sel:DWORD src1_sel:BYTE_0
	v_lshlrev_b32_sdwa v35, v80, v35 dst_sel:DWORD dst_unused:UNUSED_PAD src0_sel:DWORD src1_sel:BYTE_0
	v_mad_u32_u24 v115, v79, s12, 0
	v_lshlrev_b32_sdwa v116, v80, v97 dst_sel:DWORD dst_unused:UNUSED_PAD src0_sel:DWORD src1_sel:BYTE_0
	v_add3_u32 v79, v4, v5, v73
	v_add3_u32 v78, v34, v35, v73
	s_mov_b32 s4, 0xe8584caa
	s_mov_b32 s5, 0x3febb67a
	;; [unrolled: 1-line block ×4, first 2 shown]
	s_waitcnt vmcnt(0) lgkmcnt(0)
	s_barrier
	v_mul_f64 v[97:98], v[10:11], v[28:29]
	v_mul_f64 v[4:5], v[16:17], v[32:33]
	;; [unrolled: 1-line block ×4, first 2 shown]
	v_fma_f64 v[32:33], v[56:57], v[30:31], -v[4:5]
	v_mul_f64 v[103:104], v[12:13], v[38:39]
	v_mul_f64 v[99:100], v[18:19], v[42:43]
	v_mul_f64 v[101:102], v[58:59], v[42:43]
	v_mul_f64 v[105:106], v[60:61], v[38:39]
	v_fma_f64 v[42:43], v[16:17], v[30:31], v[34:35]
	v_fma_f64 v[34:35], v[54:55], v[26:27], -v[97:98]
	v_fma_f64 v[4:5], v[10:11], v[26:27], v[28:29]
	v_fma_f64 v[16:17], v[58:59], v[40:41], -v[99:100]
	v_fma_f64 v[38:39], v[18:19], v[40:41], v[101:102]
	v_fma_f64 v[18:19], v[60:61], v[36:37], -v[103:104]
	v_mul_f64 v[109:110], v[14:15], v[83:84]
	v_mul_f64 v[107:108], v[8:9], v[87:88]
	;; [unrolled: 1-line block ×4, first 2 shown]
	v_fma_f64 v[10:11], v[12:13], v[36:37], v[105:106]
	v_add_f64 v[54:55], v[42:43], -v[4:5]
	v_add_f64 v[56:57], v[48:49], v[16:17]
	v_fma_f64 v[36:37], v[62:63], v[81:82], -v[109:110]
	v_fma_f64 v[12:13], v[52:53], v[85:86], -v[107:108]
	v_mul_f64 v[111:112], v[6:7], v[91:92]
	v_mul_f64 v[91:92], v[46:47], v[91:92]
	v_fma_f64 v[40:41], v[8:9], v[85:86], v[87:88]
	v_fma_f64 v[8:9], v[14:15], v[81:82], v[83:84]
	v_add_f64 v[14:15], v[16:17], v[18:19]
	v_mul_f64 v[113:114], v[24:25], v[95:96]
	v_mul_f64 v[95:96], v[71:72], v[95:96]
	v_add_f64 v[52:53], v[12:13], v[36:37]
	v_fma_f64 v[26:27], v[46:47], v[89:90], -v[111:112]
	v_fma_f64 v[28:29], v[6:7], v[89:90], v[91:92]
	v_add_f64 v[6:7], v[32:33], v[34:35]
	v_add_f64 v[46:47], v[69:70], v[32:33]
	v_add_f64 v[60:61], v[38:39], -v[10:11]
	v_fma_f64 v[14:15], v[14:15], -0.5, v[48:49]
	v_add_f64 v[58:59], v[50:51], v[12:13]
	v_add_f64 v[48:49], v[40:41], -v[8:9]
	v_fma_f64 v[50:51], v[52:53], -0.5, v[50:51]
	v_fma_f64 v[30:31], v[71:72], v[93:94], -v[113:114]
	v_fma_f64 v[6:7], v[6:7], -0.5, v[69:70]
	v_add_f64 v[52:53], v[46:47], v[34:35]
	v_fma_f64 v[24:25], v[24:25], v[93:94], v[95:96]
	v_add_f64 v[56:57], v[56:57], v[18:19]
	v_add_f64 v[58:59], v[58:59], v[36:37]
	v_add3_u32 v46, v115, v116, v73
	v_fma_f64 v[62:63], v[54:55], s[4:5], v[6:7]
	v_fma_f64 v[6:7], v[54:55], s[6:7], v[6:7]
	v_fma_f64 v[54:55], v[60:61], s[4:5], v[14:15]
	v_fma_f64 v[14:15], v[60:61], s[6:7], v[14:15]
	v_fma_f64 v[60:61], v[48:49], s[4:5], v[50:51]
	v_fma_f64 v[47:48], v[48:49], s[6:7], v[50:51]
	ds_write2_b64 v79, v[52:53], v[62:63] offset1:11
	ds_write_b64 v79, v[6:7] offset:176
	ds_write2_b64 v78, v[56:57], v[54:55] offset1:11
	ds_write_b64 v78, v[14:15] offset:176
	;; [unrolled: 2-line block ×3, first 2 shown]
	s_and_saveexec_b64 s[10:11], s[0:1]
	s_cbranch_execz .LBB0_16
; %bb.15:
	v_add_f64 v[6:7], v[26:27], v[30:31]
	v_add_f64 v[14:15], v[28:29], -v[24:25]
	v_add_f64 v[47:48], v[44:45], v[26:27]
	v_fma_f64 v[6:7], v[6:7], -0.5, v[44:45]
	v_add_f64 v[44:45], v[47:48], v[30:31]
	v_fma_f64 v[47:48], v[14:15], s[4:5], v[6:7]
	v_fma_f64 v[6:7], v[14:15], s[6:7], v[6:7]
	v_mad_u32_u24 v14, v76, s12, 0
	v_lshlrev_b32_sdwa v15, v80, v77 dst_sel:DWORD dst_unused:UNUSED_PAD src0_sel:DWORD src1_sel:BYTE_0
	v_add3_u32 v14, v14, v15, v73
	ds_write2_b64 v14, v[44:45], v[47:48] offset1:11
	ds_write_b64 v14, v[6:7] offset:176
.LBB0_16:
	s_or_b64 exec, exec, s[10:11]
	v_add_f64 v[6:7], v[42:43], v[4:5]
	v_add_f64 v[14:15], v[38:39], v[10:11]
	;; [unrolled: 1-line block ×4, first 2 shown]
	v_add_f64 v[32:33], v[32:33], -v[34:35]
	v_add_f64 v[34:35], v[0:1], v[38:39]
	v_add_f64 v[16:17], v[16:17], -v[18:19]
	v_add_f64 v[12:13], v[12:13], -v[36:37]
	v_fma_f64 v[6:7], v[6:7], -0.5, v[20:21]
	v_fma_f64 v[0:1], v[14:15], -0.5, v[0:1]
	v_add_f64 v[14:15], v[2:3], v[40:41]
	v_fma_f64 v[2:3], v[44:45], -0.5, v[2:3]
	v_add_f64 v[36:37], v[42:43], v[4:5]
	v_lshlrev_b32_e32 v4, 3, v68
	v_add_f64 v[34:35], v[34:35], v[10:11]
	s_waitcnt lgkmcnt(0)
	v_fma_f64 v[38:39], v[32:33], s[6:7], v[6:7]
	v_fma_f64 v[40:41], v[32:33], s[4:5], v[6:7]
	v_add3_u32 v32, 0, v4, v73
	v_add_u32_e32 v4, 0x400, v32
	v_fma_f64 v[42:43], v[16:17], s[6:7], v[0:1]
	v_fma_f64 v[44:45], v[16:17], s[4:5], v[0:1]
	v_add_f64 v[47:48], v[14:15], v[8:9]
	v_fma_f64 v[49:50], v[12:13], s[6:7], v[2:3]
	v_fma_f64 v[51:52], v[12:13], s[4:5], v[2:3]
	s_barrier
	ds_read_b64 v[20:21], v74
	ds_read2_b64 v[0:3], v75 offset0:33 offset1:66
	ds_read2_b64 v[8:11], v32 offset0:99 offset1:132
	;; [unrolled: 1-line block ×4, first 2 shown]
	v_add_u32_e32 v4, 0x800, v32
	ds_read2_b64 v[4:7], v4 offset0:41 offset1:74
	s_waitcnt lgkmcnt(0)
	s_barrier
	ds_write2_b64 v79, v[36:37], v[38:39] offset1:11
	ds_write_b64 v79, v[40:41] offset:176
	ds_write2_b64 v78, v[34:35], v[42:43] offset1:11
	ds_write_b64 v78, v[44:45] offset:176
	;; [unrolled: 2-line block ×3, first 2 shown]
	s_and_saveexec_b64 s[4:5], s[0:1]
	s_cbranch_execz .LBB0_18
; %bb.17:
	v_add_f64 v[33:34], v[28:29], v[24:25]
	v_add_f64 v[28:29], v[22:23], v[28:29]
	v_add_f64 v[26:27], v[26:27], -v[30:31]
	s_mov_b32 s1, 0xbfebb67a
	s_mov_b32 s0, 0xe8584caa
	v_fma_f64 v[22:23], v[33:34], -0.5, v[22:23]
	v_add_f64 v[24:25], v[28:29], v[24:25]
	v_fma_f64 v[28:29], v[26:27], s[0:1], v[22:23]
	s_mov_b32 s1, 0x3febb67a
	v_fma_f64 v[22:23], v[26:27], s[0:1], v[22:23]
	s_movk_i32 s0, 0x108
	v_mov_b32_e32 v27, 3
	v_mad_u32_u24 v26, v76, s0, 0
	v_lshlrev_b32_sdwa v27, v27, v77 dst_sel:DWORD dst_unused:UNUSED_PAD src0_sel:DWORD src1_sel:BYTE_0
	v_add3_u32 v26, v26, v27, v73
	ds_write2_b64 v26, v[24:25], v[28:29] offset1:11
	ds_write_b64 v26, v[22:23] offset:176
.LBB0_18:
	s_or_b64 exec, exec, s[4:5]
	s_waitcnt lgkmcnt(0)
	s_barrier
	s_and_saveexec_b64 s[0:1], vcc
	s_cbranch_execz .LBB0_20
; %bb.19:
	v_mul_u32_u24_e32 v22, 10, v68
	v_lshlrev_b32_e32 v22, 4, v22
	global_load_dwordx4 v[26:29], v22, s[8:9] offset:416
	global_load_dwordx4 v[36:39], v22, s[8:9] offset:432
	;; [unrolled: 1-line block ×10, first 2 shown]
	ds_read2_b64 v[50:53], v32 offset0:165 offset1:198
	v_add_u32_e32 v24, 0x400, v32
	ds_read2_b64 v[68:71], v32 offset0:99 offset1:132
	ds_read2_b64 v[98:101], v75 offset0:33 offset1:66
	v_add_u32_e32 v25, 0x800, v32
	ds_read_b64 v[22:23], v74
	ds_read2_b64 v[72:75], v24 offset0:103 offset1:136
	ds_read2_b64 v[102:105], v25 offset0:41 offset1:74
	s_mov_b32 s10, 0x9bcd5057
	s_mov_b32 s11, 0xbfeeb42a
	;; [unrolled: 1-line block ×30, first 2 shown]
	s_waitcnt vmcnt(9)
	v_mul_f64 v[24:25], v[16:17], v[28:29]
	s_waitcnt vmcnt(8)
	v_mul_f64 v[30:31], v[18:19], v[38:39]
	s_waitcnt lgkmcnt(5)
	v_mul_f64 v[32:33], v[52:53], v[38:39]
	s_waitcnt vmcnt(7)
	v_mul_f64 v[38:39], v[10:11], v[44:45]
	s_waitcnt vmcnt(6)
	v_mul_f64 v[62:63], v[12:13], v[48:49]
	s_waitcnt lgkmcnt(1)
	v_mul_f64 v[48:49], v[72:73], v[48:49]
	s_waitcnt vmcnt(5)
	v_mul_f64 v[80:81], v[8:9], v[56:57]
	s_waitcnt vmcnt(3)
	;; [unrolled: 2-line block ×4, first 2 shown]
	v_mul_f64 v[110:111], v[6:7], v[96:97]
	v_mul_f64 v[28:29], v[50:51], v[28:29]
	;; [unrolled: 1-line block ×7, first 2 shown]
	s_waitcnt lgkmcnt(0)
	v_mul_f64 v[96:97], v[104:105], v[96:97]
	v_fma_f64 v[34:35], v[50:51], v[26:27], v[24:25]
	v_fma_f64 v[24:25], v[52:53], v[36:37], v[30:31]
	v_fma_f64 v[36:37], v[18:19], v[36:37], -v[32:33]
	v_fma_f64 v[52:53], v[70:71], v[42:43], v[38:39]
	v_fma_f64 v[32:33], v[12:13], v[46:47], -v[48:49]
	v_fma_f64 v[70:71], v[68:69], v[54:55], v[80:81]
	v_fma_f64 v[80:81], v[100:101], v[76:77], v[92:93]
	;; [unrolled: 1-line block ×4, first 2 shown]
	v_mul_f64 v[78:79], v[100:101], v[78:79]
	v_mul_f64 v[86:87], v[102:103], v[86:87]
	v_fma_f64 v[40:41], v[16:17], v[26:27], -v[28:29]
	v_fma_f64 v[28:29], v[14:15], v[58:59], -v[60:61]
	v_fma_f64 v[16:17], v[102:103], v[84:85], v[106:107]
	v_fma_f64 v[90:91], v[0:1], v[88:89], -v[90:91]
	v_fma_f64 v[14:15], v[6:7], v[94:95], -v[96:97]
	v_add_f64 v[98:99], v[92:93], v[12:13]
	v_mul_f64 v[56:57], v[68:69], v[56:57]
	v_fma_f64 v[26:27], v[74:75], v[58:59], v[82:83]
	v_fma_f64 v[82:83], v[2:3], v[76:77], -v[78:79]
	v_fma_f64 v[18:19], v[4:5], v[84:85], -v[86:87]
	v_add_f64 v[96:97], v[80:81], v[16:17]
	v_add_f64 v[84:85], v[92:93], -v[12:13]
	v_add_f64 v[60:61], v[90:91], -v[14:15]
	v_mul_f64 v[0:1], v[98:99], s[10:11]
	v_fma_f64 v[30:31], v[72:73], v[46:47], v[62:63]
	v_fma_f64 v[68:69], v[8:9], v[54:55], -v[56:57]
	v_add_f64 v[94:95], v[70:71], v[26:27]
	v_add_f64 v[54:55], v[82:83], -v[18:19]
	v_add_f64 v[78:79], v[80:81], -v[16:17]
	v_add_f64 v[72:73], v[90:91], v[14:15]
	v_mul_f64 v[2:3], v[84:85], s[24:25]
	v_mul_f64 v[4:5], v[96:97], s[12:13]
	v_fma_f64 v[8:9], v[60:61], s[26:27], v[0:1]
	v_fma_f64 v[50:51], v[10:11], v[42:43], -v[44:45]
	v_add_f64 v[88:89], v[52:53], v[30:31]
	v_add_f64 v[48:49], v[68:69], -v[28:29]
	v_add_f64 v[62:63], v[70:71], -v[26:27]
	v_add_f64 v[58:59], v[82:83], v[18:19]
	v_mul_f64 v[100:101], v[94:95], s[0:1]
	v_mul_f64 v[104:105], v[78:79], s[28:29]
	v_fma_f64 v[106:107], v[72:73], s[10:11], v[2:3]
	v_fma_f64 v[108:109], v[54:55], s[14:15], v[4:5]
	;; [unrolled: 1-line block ×3, first 2 shown]
	v_add_f64 v[8:9], v[22:23], v[8:9]
	v_fma_f64 v[2:3], v[72:73], s[10:11], -v[2:3]
	v_add_f64 v[86:87], v[34:35], v[24:25]
	v_add_f64 v[44:45], v[50:51], -v[32:33]
	v_add_f64 v[74:75], v[52:53], -v[30:31]
	v_add_f64 v[56:57], v[68:69], v[28:29]
	v_mul_f64 v[10:11], v[88:89], s[6:7]
	v_mul_f64 v[110:111], v[62:63], s[22:23]
	v_fma_f64 v[112:113], v[48:49], s[16:17], v[100:101]
	v_fma_f64 v[114:115], v[58:59], s[12:13], v[104:105]
	v_add_f64 v[106:107], v[20:21], v[106:107]
	v_fma_f64 v[4:5], v[54:55], s[28:29], v[4:5]
	v_add_f64 v[0:1], v[22:23], v[0:1]
	v_add_f64 v[8:9], v[108:109], v[8:9]
	v_fma_f64 v[104:105], v[58:59], s[12:13], -v[104:105]
	v_add_f64 v[2:3], v[20:21], v[2:3]
	v_add_f64 v[38:39], v[40:41], -v[36:37]
	v_add_f64 v[76:77], v[34:35], -v[24:25]
	v_add_f64 v[46:47], v[50:51], v[32:33]
	v_mul_f64 v[6:7], v[86:87], s[4:5]
	v_mul_f64 v[102:103], v[74:75], s[30:31]
	v_fma_f64 v[108:109], v[44:45], s[8:9], v[10:11]
	v_fma_f64 v[116:117], v[56:57], s[0:1], v[110:111]
	v_add_f64 v[106:107], v[114:115], v[106:107]
	v_fma_f64 v[100:101], v[48:49], s[22:23], v[100:101]
	v_add_f64 v[0:1], v[4:5], v[0:1]
	v_add_f64 v[4:5], v[112:113], v[8:9]
	v_fma_f64 v[8:9], v[56:57], s[0:1], -v[110:111]
	v_add_f64 v[2:3], v[104:105], v[2:3]
	v_add_f64 v[42:43], v[40:41], v[36:37]
	v_mul_f64 v[104:105], v[76:77], s[20:21]
	v_fma_f64 v[110:111], v[46:47], s[6:7], v[102:103]
	v_add_f64 v[106:107], v[116:117], v[106:107]
	v_fma_f64 v[10:11], v[44:45], s[30:31], v[10:11]
	v_add_f64 v[0:1], v[100:101], v[0:1]
	v_fma_f64 v[100:101], v[38:39], s[18:19], v[6:7]
	v_fma_f64 v[102:103], v[46:47], s[6:7], -v[102:103]
	v_add_f64 v[2:3], v[8:9], v[2:3]
	v_add_f64 v[4:5], v[108:109], v[4:5]
	v_fma_f64 v[8:9], v[42:43], s[4:5], v[104:105]
	v_add_f64 v[106:107], v[110:111], v[106:107]
	v_fma_f64 v[6:7], v[38:39], s[20:21], v[6:7]
	v_add_f64 v[10:11], v[10:11], v[0:1]
	v_fma_f64 v[104:105], v[42:43], s[4:5], -v[104:105]
	v_mul_f64 v[108:109], v[98:99], s[0:1]
	v_add_f64 v[102:103], v[102:103], v[2:3]
	v_add_f64 v[2:3], v[100:101], v[4:5]
	v_mul_f64 v[100:101], v[84:85], s[22:23]
	v_add_f64 v[0:1], v[8:9], v[106:107]
	v_mul_f64 v[8:9], v[96:97], s[4:5]
	;; [unrolled: 2-line block ×3, first 2 shown]
	v_fma_f64 v[10:11], v[60:61], s[16:17], v[108:109]
	v_add_f64 v[4:5], v[104:105], v[102:103]
	v_mul_f64 v[102:103], v[78:79], s[18:19]
	v_fma_f64 v[104:105], v[72:73], s[0:1], v[100:101]
	v_fma_f64 v[108:109], v[60:61], s[22:23], v[108:109]
	;; [unrolled: 1-line block ×3, first 2 shown]
	v_mul_f64 v[116:117], v[62:63], s[14:15]
	v_fma_f64 v[8:9], v[54:55], s[18:19], v[8:9]
	v_add_f64 v[10:11], v[22:23], v[10:11]
	v_mul_f64 v[120:121], v[88:89], s[10:11]
	v_fma_f64 v[118:119], v[58:59], s[4:5], v[102:103]
	v_add_f64 v[104:105], v[20:21], v[104:105]
	v_add_f64 v[108:109], v[22:23], v[108:109]
	v_fma_f64 v[122:123], v[48:49], s[28:29], v[112:113]
	v_fma_f64 v[100:101], v[72:73], s[0:1], -v[100:101]
	v_fma_f64 v[112:113], v[48:49], s[14:15], v[112:113]
	v_add_f64 v[10:11], v[114:115], v[10:11]
	v_mul_f64 v[114:115], v[74:75], s[24:25]
	v_mul_f64 v[110:111], v[86:87], s[6:7]
	v_add_f64 v[104:105], v[118:119], v[104:105]
	v_fma_f64 v[118:119], v[56:57], s[12:13], v[116:117]
	v_add_f64 v[8:9], v[8:9], v[108:109]
	v_fma_f64 v[108:109], v[44:45], s[26:27], v[120:121]
	v_fma_f64 v[102:103], v[58:59], s[4:5], -v[102:103]
	v_add_f64 v[100:101], v[20:21], v[100:101]
	v_add_f64 v[10:11], v[122:123], v[10:11]
	v_mul_f64 v[122:123], v[98:99], s[4:5]
	v_fma_f64 v[120:121], v[44:45], s[24:25], v[120:121]
	v_add_f64 v[104:105], v[118:119], v[104:105]
	v_fma_f64 v[118:119], v[46:47], s[10:11], v[114:115]
	v_add_f64 v[8:9], v[112:113], v[8:9]
	v_fma_f64 v[106:107], v[38:39], s[8:9], v[110:111]
	v_fma_f64 v[112:113], v[56:57], s[12:13], -v[116:117]
	v_add_f64 v[100:101], v[102:103], v[100:101]
	v_mul_f64 v[102:103], v[96:97], s[10:11]
	v_fma_f64 v[116:117], v[60:61], s[18:19], v[122:123]
	v_add_f64 v[10:11], v[108:109], v[10:11]
	v_add_f64 v[104:105], v[118:119], v[104:105]
	;; [unrolled: 1-line block ×3, first 2 shown]
	v_fma_f64 v[8:9], v[46:47], s[10:11], -v[114:115]
	v_mul_f64 v[114:115], v[84:85], s[20:21]
	v_mul_f64 v[108:109], v[76:77], s[30:31]
	v_add_f64 v[100:101], v[112:113], v[100:101]
	v_fma_f64 v[112:113], v[54:55], s[24:25], v[102:103]
	v_add_f64 v[116:117], v[22:23], v[116:117]
	v_mul_f64 v[120:121], v[94:95], s[6:7]
	v_add_f64 v[10:11], v[106:107], v[10:11]
	v_mul_f64 v[106:107], v[78:79], s[26:27]
	v_fma_f64 v[126:127], v[72:73], s[4:5], v[114:115]
	v_fma_f64 v[124:125], v[42:43], s[6:7], v[108:109]
	;; [unrolled: 1-line block ×3, first 2 shown]
	v_mul_f64 v[128:129], v[88:89], s[12:13]
	v_add_f64 v[112:113], v[112:113], v[116:117]
	v_fma_f64 v[116:117], v[48:49], s[8:9], v[120:121]
	v_mul_f64 v[132:133], v[62:63], s[30:31]
	v_fma_f64 v[130:131], v[58:59], s[10:11], v[106:107]
	v_add_f64 v[126:127], v[20:21], v[126:127]
	v_fma_f64 v[110:111], v[38:39], s[30:31], v[110:111]
	v_fma_f64 v[102:103], v[54:55], s[26:27], v[102:103]
	v_add_f64 v[122:123], v[22:23], v[122:123]
	v_add_f64 v[100:101], v[8:9], v[100:101]
	;; [unrolled: 1-line block ×3, first 2 shown]
	v_fma_f64 v[104:105], v[44:45], s[28:29], v[128:129]
	v_add_f64 v[112:113], v[116:117], v[112:113]
	v_add_f64 v[116:117], v[130:131], v[126:127]
	v_fma_f64 v[124:125], v[56:57], s[6:7], v[132:133]
	v_mul_f64 v[126:127], v[74:75], s[14:15]
	v_fma_f64 v[108:109], v[42:43], s[6:7], -v[108:109]
	v_fma_f64 v[114:115], v[72:73], s[4:5], -v[114:115]
	v_add_f64 v[122:123], v[102:103], v[122:123]
	v_add_f64 v[102:103], v[110:111], v[118:119]
	;; [unrolled: 1-line block ×3, first 2 shown]
	v_mul_f64 v[118:119], v[98:99], s[6:7]
	v_add_f64 v[110:111], v[124:125], v[116:117]
	v_fma_f64 v[112:113], v[46:47], s[12:13], v[126:127]
	v_fma_f64 v[120:121], v[48:49], s[30:31], v[120:121]
	v_add_f64 v[100:101], v[108:109], v[100:101]
	v_fma_f64 v[106:107], v[58:59], s[10:11], -v[106:107]
	v_add_f64 v[108:109], v[20:21], v[114:115]
	v_mul_f64 v[116:117], v[86:87], s[0:1]
	v_fma_f64 v[124:125], v[44:45], s[14:15], v[128:129]
	v_fma_f64 v[128:129], v[60:61], s[30:31], v[118:119]
	v_add_f64 v[110:111], v[112:113], v[110:111]
	v_mul_f64 v[112:113], v[96:97], s[0:1]
	v_add_f64 v[114:115], v[120:121], v[122:123]
	v_fma_f64 v[122:123], v[56:57], s[6:7], -v[132:133]
	v_add_f64 v[106:107], v[106:107], v[108:109]
	v_mul_f64 v[108:109], v[76:77], s[22:23]
	v_fma_f64 v[134:135], v[38:39], s[16:17], v[116:117]
	v_mul_f64 v[136:137], v[94:95], s[10:11]
	v_add_f64 v[128:129], v[22:23], v[128:129]
	v_fma_f64 v[138:139], v[54:55], s[16:17], v[112:113]
	v_mul_f64 v[120:121], v[84:85], s[8:9]
	v_add_f64 v[114:115], v[124:125], v[114:115]
	v_add_f64 v[122:123], v[122:123], v[106:107]
	v_fma_f64 v[144:145], v[42:43], s[0:1], v[108:109]
	v_add_f64 v[106:107], v[134:135], v[104:105]
	v_fma_f64 v[104:105], v[48:49], s[24:25], v[136:137]
	v_fma_f64 v[116:117], v[38:39], s[22:23], v[116:117]
	v_add_f64 v[124:125], v[138:139], v[128:129]
	v_fma_f64 v[118:119], v[60:61], s[8:9], v[118:119]
	v_fma_f64 v[130:131], v[72:73], s[6:7], v[120:121]
	v_mul_f64 v[132:133], v[78:79], s[22:23]
	v_fma_f64 v[112:113], v[54:55], s[22:23], v[112:113]
	v_fma_f64 v[126:127], v[46:47], s[12:13], -v[126:127]
	v_mul_f64 v[128:129], v[88:89], s[4:5]
	v_mul_f64 v[142:143], v[62:63], s[26:27]
	v_add_f64 v[124:125], v[104:105], v[124:125]
	v_add_f64 v[104:105], v[144:145], v[110:111]
	;; [unrolled: 1-line block ×5, first 2 shown]
	v_fma_f64 v[140:141], v[58:59], s[0:1], v[132:133]
	v_add_f64 v[122:123], v[126:127], v[122:123]
	v_fma_f64 v[126:127], v[44:45], s[20:21], v[128:129]
	v_fma_f64 v[134:135], v[56:57], s[10:11], v[142:143]
	v_mul_f64 v[138:139], v[74:75], s[18:19]
	v_mul_f64 v[98:99], v[98:99], s[12:13]
	v_add_f64 v[112:113], v[112:113], v[114:115]
	v_fma_f64 v[114:115], v[48:49], s[26:27], v[136:137]
	v_add_f64 v[130:131], v[140:141], v[130:131]
	v_add_f64 v[140:141], v[20:21], v[90:91]
	v_mul_f64 v[84:85], v[84:85], s[14:15]
	v_add_f64 v[116:117], v[126:127], v[124:125]
	v_fma_f64 v[120:121], v[72:73], s[6:7], -v[120:121]
	v_fma_f64 v[126:127], v[60:61], s[28:29], v[98:99]
	v_mul_f64 v[96:97], v[96:97], s[6:7]
	v_add_f64 v[112:113], v[114:115], v[112:113]
	v_fma_f64 v[114:115], v[44:45], s[18:19], v[128:129]
	v_add_f64 v[128:129], v[22:23], v[92:93]
	v_add_f64 v[82:83], v[82:83], v[140:141]
	v_add_f64 v[130:131], v[134:135], v[130:131]
	v_fma_f64 v[134:135], v[46:47], s[4:5], v[138:139]
	v_fma_f64 v[60:61], v[60:61], s[14:15], v[98:99]
	v_fma_f64 v[108:109], v[42:43], s[0:1], -v[108:109]
	v_mul_f64 v[124:125], v[76:77], s[28:29]
	v_add_f64 v[120:121], v[20:21], v[120:121]
	v_add_f64 v[80:81], v[80:81], v[128:129]
	v_add_f64 v[68:69], v[68:69], v[82:83]
	v_add_f64 v[126:127], v[22:23], v[126:127]
	v_add_f64 v[118:119], v[134:135], v[130:131]
	v_fma_f64 v[130:131], v[58:59], s[0:1], -v[132:133]
	v_fma_f64 v[136:137], v[54:55], s[30:31], v[96:97]
	v_mul_f64 v[94:95], v[94:95], s[4:5]
	v_mul_f64 v[62:63], v[62:63], s[20:21]
	v_add_f64 v[70:71], v[70:71], v[80:81]
	v_add_f64 v[50:51], v[50:51], v[68:69]
	v_mul_f64 v[68:69], v[78:79], s[8:9]
	v_fma_f64 v[54:55], v[54:55], s[8:9], v[96:97]
	v_add_f64 v[22:23], v[22:23], v[60:61]
	v_add_f64 v[108:109], v[108:109], v[122:123]
	v_mul_f64 v[122:123], v[86:87], s[12:13]
	v_fma_f64 v[134:135], v[42:43], s[12:13], v[124:125]
	v_add_f64 v[52:53], v[52:53], v[70:71]
	v_fma_f64 v[70:71], v[72:73], s[12:13], v[84:85]
	v_fma_f64 v[72:73], v[72:73], s[12:13], -v[84:85]
	v_add_f64 v[40:41], v[40:41], v[50:51]
	v_fma_f64 v[50:51], v[58:59], s[6:7], v[68:69]
	v_fma_f64 v[58:59], v[58:59], s[6:7], -v[68:69]
	v_add_f64 v[120:121], v[130:131], v[120:121]
	v_fma_f64 v[130:131], v[56:57], s[10:11], -v[142:143]
	v_add_f64 v[34:35], v[34:35], v[52:53]
	v_add_f64 v[52:53], v[20:21], v[70:71]
	;; [unrolled: 1-line block ×4, first 2 shown]
	v_fma_f64 v[136:137], v[48:49], s[18:19], v[94:95]
	v_mul_f64 v[88:89], v[88:89], s[0:1]
	v_mul_f64 v[74:75], v[74:75], s[22:23]
	v_fma_f64 v[48:49], v[48:49], s[20:21], v[94:95]
	v_add_f64 v[24:25], v[24:25], v[34:35]
	v_add_f64 v[34:35], v[36:37], v[40:41]
	v_fma_f64 v[36:37], v[56:57], s[4:5], v[62:63]
	v_add_f64 v[40:41], v[50:51], v[52:53]
	v_add_f64 v[22:23], v[54:55], v[22:23]
	v_fma_f64 v[50:51], v[56:57], s[4:5], -v[62:63]
	v_add_f64 v[20:21], v[58:59], v[20:21]
	v_fma_f64 v[132:133], v[38:39], s[14:15], v[122:123]
	v_add_f64 v[24:25], v[30:31], v[24:25]
	v_add_f64 v[30:31], v[32:33], v[34:35]
	;; [unrolled: 1-line block ×5, first 2 shown]
	v_fma_f64 v[118:119], v[46:47], s[4:5], -v[138:139]
	v_mul_f64 v[86:87], v[86:87], s[10:11]
	v_mul_f64 v[76:77], v[76:77], s[24:25]
	v_fma_f64 v[32:33], v[46:47], s[0:1], v[74:75]
	v_add_f64 v[34:35], v[36:37], v[40:41]
	v_fma_f64 v[36:37], v[44:45], s[22:23], v[88:89]
	v_add_f64 v[22:23], v[48:49], v[22:23]
	v_fma_f64 v[40:41], v[46:47], s[0:1], -v[74:75]
	v_add_f64 v[20:21], v[50:51], v[20:21]
	v_add_f64 v[24:25], v[26:27], v[24:25]
	;; [unrolled: 1-line block ×5, first 2 shown]
	v_fma_f64 v[120:121], v[44:45], s[16:17], v[88:89]
	v_fma_f64 v[80:81], v[38:39], s[28:29], v[122:123]
	v_fma_f64 v[82:83], v[42:43], s[12:13], -v[124:125]
	v_add_f64 v[114:115], v[118:119], v[114:115]
	v_fma_f64 v[118:119], v[38:39], s[26:27], v[86:87]
	v_fma_f64 v[28:29], v[42:43], s[10:11], v[76:77]
	v_add_f64 v[30:31], v[32:33], v[34:35]
	v_fma_f64 v[32:33], v[38:39], s[24:25], v[86:87]
	v_add_f64 v[34:35], v[36:37], v[22:23]
	v_fma_f64 v[36:37], v[42:43], s[10:11], -v[76:77]
	v_add_f64 v[38:39], v[40:41], v[20:21]
	v_add_f64 v[40:41], v[16:17], v[24:25]
	;; [unrolled: 1-line block ×11, first 2 shown]
	v_mov_b32_e32 v12, s3
	v_add_co_u32_e32 v14, vcc, s2, v64
	v_add_f64 v[22:23], v[118:119], v[116:117]
	v_addc_co_u32_e32 v15, vcc, v12, v65, vcc
	v_lshlrev_b64 v[12:13], 4, v[66:67]
	v_add_co_u32_e32 v12, vcc, v14, v12
	v_addc_co_u32_e32 v13, vcc, v15, v13, vcc
	global_store_dwordx4 v[12:13], v[28:31], off
	global_store_dwordx4 v[12:13], v[24:27], off offset:528
	global_store_dwordx4 v[12:13], v[16:19], off offset:1056
	;; [unrolled: 1-line block ×7, first 2 shown]
	v_add_co_u32_e32 v0, vcc, 0x1000, v12
	v_addc_co_u32_e32 v1, vcc, 0, v13, vcc
	global_store_dwordx4 v[0:1], v[104:107], off offset:128
	global_store_dwordx4 v[0:1], v[90:93], off offset:656
	;; [unrolled: 1-line block ×3, first 2 shown]
.LBB0_20:
	s_endpgm
	.section	.rodata,"a",@progbits
	.p2align	6, 0x0
	.amdhsa_kernel fft_rtc_fwd_len363_factors_11_3_11_wgs_99_tpt_33_halfLds_dp_ip_CI_unitstride_sbrr_dirReg
		.amdhsa_group_segment_fixed_size 0
		.amdhsa_private_segment_fixed_size 0
		.amdhsa_kernarg_size 88
		.amdhsa_user_sgpr_count 6
		.amdhsa_user_sgpr_private_segment_buffer 1
		.amdhsa_user_sgpr_dispatch_ptr 0
		.amdhsa_user_sgpr_queue_ptr 0
		.amdhsa_user_sgpr_kernarg_segment_ptr 1
		.amdhsa_user_sgpr_dispatch_id 0
		.amdhsa_user_sgpr_flat_scratch_init 0
		.amdhsa_user_sgpr_private_segment_size 0
		.amdhsa_uses_dynamic_stack 0
		.amdhsa_system_sgpr_private_segment_wavefront_offset 0
		.amdhsa_system_sgpr_workgroup_id_x 1
		.amdhsa_system_sgpr_workgroup_id_y 0
		.amdhsa_system_sgpr_workgroup_id_z 0
		.amdhsa_system_sgpr_workgroup_info 0
		.amdhsa_system_vgpr_workitem_id 0
		.amdhsa_next_free_vgpr 146
		.amdhsa_next_free_sgpr 38
		.amdhsa_reserve_vcc 1
		.amdhsa_reserve_flat_scratch 0
		.amdhsa_float_round_mode_32 0
		.amdhsa_float_round_mode_16_64 0
		.amdhsa_float_denorm_mode_32 3
		.amdhsa_float_denorm_mode_16_64 3
		.amdhsa_dx10_clamp 1
		.amdhsa_ieee_mode 1
		.amdhsa_fp16_overflow 0
		.amdhsa_exception_fp_ieee_invalid_op 0
		.amdhsa_exception_fp_denorm_src 0
		.amdhsa_exception_fp_ieee_div_zero 0
		.amdhsa_exception_fp_ieee_overflow 0
		.amdhsa_exception_fp_ieee_underflow 0
		.amdhsa_exception_fp_ieee_inexact 0
		.amdhsa_exception_int_div_zero 0
	.end_amdhsa_kernel
	.text
.Lfunc_end0:
	.size	fft_rtc_fwd_len363_factors_11_3_11_wgs_99_tpt_33_halfLds_dp_ip_CI_unitstride_sbrr_dirReg, .Lfunc_end0-fft_rtc_fwd_len363_factors_11_3_11_wgs_99_tpt_33_halfLds_dp_ip_CI_unitstride_sbrr_dirReg
                                        ; -- End function
	.section	.AMDGPU.csdata,"",@progbits
; Kernel info:
; codeLenInByte = 8888
; NumSgprs: 42
; NumVgprs: 146
; ScratchSize: 0
; MemoryBound: 1
; FloatMode: 240
; IeeeMode: 1
; LDSByteSize: 0 bytes/workgroup (compile time only)
; SGPRBlocks: 5
; VGPRBlocks: 36
; NumSGPRsForWavesPerEU: 42
; NumVGPRsForWavesPerEU: 146
; Occupancy: 1
; WaveLimiterHint : 1
; COMPUTE_PGM_RSRC2:SCRATCH_EN: 0
; COMPUTE_PGM_RSRC2:USER_SGPR: 6
; COMPUTE_PGM_RSRC2:TRAP_HANDLER: 0
; COMPUTE_PGM_RSRC2:TGID_X_EN: 1
; COMPUTE_PGM_RSRC2:TGID_Y_EN: 0
; COMPUTE_PGM_RSRC2:TGID_Z_EN: 0
; COMPUTE_PGM_RSRC2:TIDIG_COMP_CNT: 0
	.type	__hip_cuid_685db379a1c57b5e,@object ; @__hip_cuid_685db379a1c57b5e
	.section	.bss,"aw",@nobits
	.globl	__hip_cuid_685db379a1c57b5e
__hip_cuid_685db379a1c57b5e:
	.byte	0                               ; 0x0
	.size	__hip_cuid_685db379a1c57b5e, 1

	.ident	"AMD clang version 19.0.0git (https://github.com/RadeonOpenCompute/llvm-project roc-6.4.0 25133 c7fe45cf4b819c5991fe208aaa96edf142730f1d)"
	.section	".note.GNU-stack","",@progbits
	.addrsig
	.addrsig_sym __hip_cuid_685db379a1c57b5e
	.amdgpu_metadata
---
amdhsa.kernels:
  - .args:
      - .actual_access:  read_only
        .address_space:  global
        .offset:         0
        .size:           8
        .value_kind:     global_buffer
      - .offset:         8
        .size:           8
        .value_kind:     by_value
      - .actual_access:  read_only
        .address_space:  global
        .offset:         16
        .size:           8
        .value_kind:     global_buffer
      - .actual_access:  read_only
        .address_space:  global
        .offset:         24
        .size:           8
        .value_kind:     global_buffer
      - .offset:         32
        .size:           8
        .value_kind:     by_value
      - .actual_access:  read_only
        .address_space:  global
        .offset:         40
        .size:           8
        .value_kind:     global_buffer
      - .actual_access:  read_only
        .address_space:  global
        .offset:         48
        .size:           8
        .value_kind:     global_buffer
      - .offset:         56
        .size:           4
        .value_kind:     by_value
      - .actual_access:  read_only
        .address_space:  global
        .offset:         64
        .size:           8
        .value_kind:     global_buffer
      - .actual_access:  read_only
        .address_space:  global
        .offset:         72
        .size:           8
        .value_kind:     global_buffer
      - .address_space:  global
        .offset:         80
        .size:           8
        .value_kind:     global_buffer
    .group_segment_fixed_size: 0
    .kernarg_segment_align: 8
    .kernarg_segment_size: 88
    .language:       OpenCL C
    .language_version:
      - 2
      - 0
    .max_flat_workgroup_size: 99
    .name:           fft_rtc_fwd_len363_factors_11_3_11_wgs_99_tpt_33_halfLds_dp_ip_CI_unitstride_sbrr_dirReg
    .private_segment_fixed_size: 0
    .sgpr_count:     42
    .sgpr_spill_count: 0
    .symbol:         fft_rtc_fwd_len363_factors_11_3_11_wgs_99_tpt_33_halfLds_dp_ip_CI_unitstride_sbrr_dirReg.kd
    .uniform_work_group_size: 1
    .uses_dynamic_stack: false
    .vgpr_count:     146
    .vgpr_spill_count: 0
    .wavefront_size: 64
amdhsa.target:   amdgcn-amd-amdhsa--gfx906
amdhsa.version:
  - 1
  - 2
...

	.end_amdgpu_metadata
